;; amdgpu-corpus repo=ROCm/rocFFT kind=compiled arch=gfx906 opt=O3
	.text
	.amdgcn_target "amdgcn-amd-amdhsa--gfx906"
	.amdhsa_code_object_version 6
	.protected	fft_rtc_back_len270_factors_10_3_3_3_wgs_108_tpt_27_halfLds_dp_op_CI_CI_sbrr_dirReg ; -- Begin function fft_rtc_back_len270_factors_10_3_3_3_wgs_108_tpt_27_halfLds_dp_op_CI_CI_sbrr_dirReg
	.globl	fft_rtc_back_len270_factors_10_3_3_3_wgs_108_tpt_27_halfLds_dp_op_CI_CI_sbrr_dirReg
	.p2align	8
	.type	fft_rtc_back_len270_factors_10_3_3_3_wgs_108_tpt_27_halfLds_dp_op_CI_CI_sbrr_dirReg,@function
fft_rtc_back_len270_factors_10_3_3_3_wgs_108_tpt_27_halfLds_dp_op_CI_CI_sbrr_dirReg: ; @fft_rtc_back_len270_factors_10_3_3_3_wgs_108_tpt_27_halfLds_dp_op_CI_CI_sbrr_dirReg
; %bb.0:
	s_load_dwordx4 s[16:19], s[4:5], 0x18
	s_load_dwordx4 s[8:11], s[4:5], 0x0
	;; [unrolled: 1-line block ×3, first 2 shown]
	v_mul_u32_u24_e32 v1, 0x97c, v0
	v_lshrrev_b32_e32 v44, 16, v1
	s_waitcnt lgkmcnt(0)
	s_load_dwordx2 s[22:23], s[16:17], 0x0
	s_load_dwordx2 s[20:21], s[18:19], 0x0
	v_cmp_lt_u64_e64 s[0:1], s[10:11], 2
	v_mov_b32_e32 v1, 0
	v_mov_b32_e32 v4, 0
	v_lshl_add_u32 v6, s6, 2, v44
	v_mov_b32_e32 v7, v1
	s_and_b64 vcc, exec, s[0:1]
	v_mov_b32_e32 v5, 0
	s_cbranch_vccnz .LBB0_8
; %bb.1:
	s_load_dwordx2 s[0:1], s[4:5], 0x10
	s_add_u32 s2, s18, 8
	s_addc_u32 s3, s19, 0
	s_add_u32 s6, s16, 8
	v_mov_b32_e32 v4, 0
	s_addc_u32 s7, s17, 0
	v_mov_b32_e32 v5, 0
	s_waitcnt lgkmcnt(0)
	s_add_u32 s24, s0, 8
	v_mov_b32_e32 v61, v5
	s_addc_u32 s25, s1, 0
	s_mov_b64 s[26:27], 1
	v_mov_b32_e32 v60, v4
.LBB0_2:                                ; =>This Inner Loop Header: Depth=1
	s_load_dwordx2 s[28:29], s[24:25], 0x0
                                        ; implicit-def: $vgpr62_vgpr63
	s_waitcnt lgkmcnt(0)
	v_or_b32_e32 v2, s29, v7
	v_cmp_ne_u64_e32 vcc, 0, v[1:2]
	s_and_saveexec_b64 s[0:1], vcc
	s_xor_b64 s[30:31], exec, s[0:1]
	s_cbranch_execz .LBB0_4
; %bb.3:                                ;   in Loop: Header=BB0_2 Depth=1
	v_cvt_f32_u32_e32 v2, s28
	v_cvt_f32_u32_e32 v3, s29
	s_sub_u32 s0, 0, s28
	s_subb_u32 s1, 0, s29
	v_mac_f32_e32 v2, 0x4f800000, v3
	v_rcp_f32_e32 v2, v2
	v_mul_f32_e32 v2, 0x5f7ffffc, v2
	v_mul_f32_e32 v3, 0x2f800000, v2
	v_trunc_f32_e32 v3, v3
	v_mac_f32_e32 v2, 0xcf800000, v3
	v_cvt_u32_f32_e32 v3, v3
	v_cvt_u32_f32_e32 v2, v2
	v_mul_lo_u32 v8, s0, v3
	v_mul_hi_u32 v9, s0, v2
	v_mul_lo_u32 v11, s1, v2
	v_mul_lo_u32 v10, s0, v2
	v_add_u32_e32 v8, v9, v8
	v_add_u32_e32 v8, v8, v11
	v_mul_hi_u32 v9, v2, v10
	v_mul_lo_u32 v11, v2, v8
	v_mul_hi_u32 v13, v2, v8
	v_mul_hi_u32 v12, v3, v10
	v_mul_lo_u32 v10, v3, v10
	v_mul_hi_u32 v14, v3, v8
	v_add_co_u32_e32 v9, vcc, v9, v11
	v_addc_co_u32_e32 v11, vcc, 0, v13, vcc
	v_mul_lo_u32 v8, v3, v8
	v_add_co_u32_e32 v9, vcc, v9, v10
	v_addc_co_u32_e32 v9, vcc, v11, v12, vcc
	v_addc_co_u32_e32 v10, vcc, 0, v14, vcc
	v_add_co_u32_e32 v8, vcc, v9, v8
	v_addc_co_u32_e32 v9, vcc, 0, v10, vcc
	v_add_co_u32_e32 v2, vcc, v2, v8
	v_addc_co_u32_e32 v3, vcc, v3, v9, vcc
	v_mul_lo_u32 v8, s0, v3
	v_mul_hi_u32 v9, s0, v2
	v_mul_lo_u32 v10, s1, v2
	v_mul_lo_u32 v11, s0, v2
	v_add_u32_e32 v8, v9, v8
	v_add_u32_e32 v8, v8, v10
	v_mul_lo_u32 v12, v2, v8
	v_mul_hi_u32 v13, v2, v11
	v_mul_hi_u32 v14, v2, v8
	;; [unrolled: 1-line block ×3, first 2 shown]
	v_mul_lo_u32 v11, v3, v11
	v_mul_hi_u32 v9, v3, v8
	v_add_co_u32_e32 v12, vcc, v13, v12
	v_addc_co_u32_e32 v13, vcc, 0, v14, vcc
	v_mul_lo_u32 v8, v3, v8
	v_add_co_u32_e32 v11, vcc, v12, v11
	v_addc_co_u32_e32 v10, vcc, v13, v10, vcc
	v_addc_co_u32_e32 v9, vcc, 0, v9, vcc
	v_add_co_u32_e32 v8, vcc, v10, v8
	v_addc_co_u32_e32 v9, vcc, 0, v9, vcc
	v_add_co_u32_e32 v8, vcc, v2, v8
	v_addc_co_u32_e32 v9, vcc, v3, v9, vcc
	v_mad_u64_u32 v[2:3], s[0:1], v6, v9, 0
	v_mul_hi_u32 v10, v6, v8
	v_add_co_u32_e32 v10, vcc, v10, v2
	v_addc_co_u32_e32 v11, vcc, 0, v3, vcc
	v_mad_u64_u32 v[2:3], s[0:1], v7, v8, 0
	v_mad_u64_u32 v[8:9], s[0:1], v7, v9, 0
	v_add_co_u32_e32 v2, vcc, v10, v2
	v_addc_co_u32_e32 v2, vcc, v11, v3, vcc
	v_addc_co_u32_e32 v3, vcc, 0, v9, vcc
	v_add_co_u32_e32 v8, vcc, v2, v8
	v_addc_co_u32_e32 v9, vcc, 0, v3, vcc
	v_mul_lo_u32 v10, s29, v8
	v_mul_lo_u32 v11, s28, v9
	v_mad_u64_u32 v[2:3], s[0:1], s28, v8, 0
	v_add3_u32 v3, v3, v11, v10
	v_sub_u32_e32 v10, v7, v3
	v_mov_b32_e32 v11, s29
	v_sub_co_u32_e32 v2, vcc, v6, v2
	v_subb_co_u32_e64 v10, s[0:1], v10, v11, vcc
	v_subrev_co_u32_e64 v11, s[0:1], s28, v2
	v_subbrev_co_u32_e64 v10, s[0:1], 0, v10, s[0:1]
	v_cmp_le_u32_e64 s[0:1], s29, v10
	v_cndmask_b32_e64 v12, 0, -1, s[0:1]
	v_cmp_le_u32_e64 s[0:1], s28, v11
	v_cndmask_b32_e64 v11, 0, -1, s[0:1]
	v_cmp_eq_u32_e64 s[0:1], s29, v10
	v_cndmask_b32_e64 v10, v12, v11, s[0:1]
	v_add_co_u32_e64 v11, s[0:1], 2, v8
	v_addc_co_u32_e64 v12, s[0:1], 0, v9, s[0:1]
	v_add_co_u32_e64 v13, s[0:1], 1, v8
	v_addc_co_u32_e64 v14, s[0:1], 0, v9, s[0:1]
	v_subb_co_u32_e32 v3, vcc, v7, v3, vcc
	v_cmp_ne_u32_e64 s[0:1], 0, v10
	v_cmp_le_u32_e32 vcc, s29, v3
	v_cndmask_b32_e64 v10, v14, v12, s[0:1]
	v_cndmask_b32_e64 v12, 0, -1, vcc
	v_cmp_le_u32_e32 vcc, s28, v2
	v_cndmask_b32_e64 v2, 0, -1, vcc
	v_cmp_eq_u32_e32 vcc, s29, v3
	v_cndmask_b32_e32 v2, v12, v2, vcc
	v_cmp_ne_u32_e32 vcc, 0, v2
	v_cndmask_b32_e64 v2, v13, v11, s[0:1]
	v_cndmask_b32_e32 v63, v9, v10, vcc
	v_cndmask_b32_e32 v62, v8, v2, vcc
.LBB0_4:                                ;   in Loop: Header=BB0_2 Depth=1
	s_andn2_saveexec_b64 s[0:1], s[30:31]
	s_cbranch_execz .LBB0_6
; %bb.5:                                ;   in Loop: Header=BB0_2 Depth=1
	v_cvt_f32_u32_e32 v2, s28
	s_sub_i32 s30, 0, s28
	v_mov_b32_e32 v63, v1
	v_rcp_iflag_f32_e32 v2, v2
	v_mul_f32_e32 v2, 0x4f7ffffe, v2
	v_cvt_u32_f32_e32 v2, v2
	v_mul_lo_u32 v3, s30, v2
	v_mul_hi_u32 v3, v2, v3
	v_add_u32_e32 v2, v2, v3
	v_mul_hi_u32 v2, v6, v2
	v_mul_lo_u32 v3, v2, s28
	v_add_u32_e32 v8, 1, v2
	v_sub_u32_e32 v3, v6, v3
	v_subrev_u32_e32 v9, s28, v3
	v_cmp_le_u32_e32 vcc, s28, v3
	v_cndmask_b32_e32 v3, v3, v9, vcc
	v_cndmask_b32_e32 v2, v2, v8, vcc
	v_add_u32_e32 v8, 1, v2
	v_cmp_le_u32_e32 vcc, s28, v3
	v_cndmask_b32_e32 v62, v2, v8, vcc
.LBB0_6:                                ;   in Loop: Header=BB0_2 Depth=1
	s_or_b64 exec, exec, s[0:1]
	v_mul_lo_u32 v8, v63, s28
	v_mul_lo_u32 v9, v62, s29
	v_mad_u64_u32 v[2:3], s[0:1], v62, s28, 0
	s_load_dwordx2 s[0:1], s[6:7], 0x0
	s_load_dwordx2 s[28:29], s[2:3], 0x0
	v_add3_u32 v3, v3, v9, v8
	v_sub_co_u32_e32 v2, vcc, v6, v2
	v_subb_co_u32_e32 v3, vcc, v7, v3, vcc
	s_waitcnt lgkmcnt(0)
	v_mul_lo_u32 v6, s0, v3
	v_mul_lo_u32 v7, s1, v2
	v_mad_u64_u32 v[4:5], s[0:1], s0, v2, v[4:5]
	v_mul_lo_u32 v3, s28, v3
	v_mul_lo_u32 v8, s29, v2
	v_mad_u64_u32 v[60:61], s[0:1], s28, v2, v[60:61]
	s_add_u32 s26, s26, 1
	s_addc_u32 s27, s27, 0
	s_add_u32 s2, s2, 8
	v_add3_u32 v61, v8, v61, v3
	s_addc_u32 s3, s3, 0
	v_mov_b32_e32 v2, s10
	s_add_u32 s6, s6, 8
	v_mov_b32_e32 v3, s11
	s_addc_u32 s7, s7, 0
	v_cmp_ge_u64_e32 vcc, s[26:27], v[2:3]
	s_add_u32 s24, s24, 8
	v_add3_u32 v5, v7, v5, v6
	s_addc_u32 s25, s25, 0
	s_cbranch_vccnz .LBB0_9
; %bb.7:                                ;   in Loop: Header=BB0_2 Depth=1
	v_mov_b32_e32 v6, v62
	v_mov_b32_e32 v7, v63
	s_branch .LBB0_2
.LBB0_8:
	v_mov_b32_e32 v61, v5
	v_mov_b32_e32 v63, v7
	;; [unrolled: 1-line block ×4, first 2 shown]
.LBB0_9:
	s_load_dwordx2 s[0:1], s[4:5], 0x28
	s_lshl_b64 s[6:7], s[10:11], 3
	s_add_u32 s2, s18, s6
	s_addc_u32 s3, s19, s7
                                        ; implicit-def: $vgpr76
                                        ; implicit-def: $vgpr78
                                        ; implicit-def: $vgpr79
                                        ; implicit-def: $vgpr77
	s_waitcnt lgkmcnt(0)
	v_cmp_gt_u64_e32 vcc, s[0:1], v[62:63]
	v_cmp_le_u64_e64 s[0:1], s[0:1], v[62:63]
	s_and_saveexec_b64 s[4:5], s[0:1]
	s_xor_b64 s[0:1], exec, s[4:5]
; %bb.10:
	s_mov_b32 s4, 0x97b425f
	v_mul_hi_u32 v1, v0, s4
                                        ; implicit-def: $vgpr4_vgpr5
	v_mul_u32_u24_e32 v1, 27, v1
	v_sub_u32_e32 v76, v0, v1
	v_add_u32_e32 v78, 27, v76
	v_add_u32_e32 v79, 54, v76
	;; [unrolled: 1-line block ×3, first 2 shown]
                                        ; implicit-def: $vgpr0
; %bb.11:
	s_or_saveexec_b64 s[4:5], s[0:1]
                                        ; implicit-def: $vgpr2_vgpr3
                                        ; implicit-def: $vgpr6_vgpr7
                                        ; implicit-def: $vgpr10_vgpr11
                                        ; implicit-def: $vgpr14_vgpr15
                                        ; implicit-def: $vgpr18_vgpr19
                                        ; implicit-def: $vgpr22_vgpr23
                                        ; implicit-def: $vgpr30_vgpr31
                                        ; implicit-def: $vgpr42_vgpr43
                                        ; implicit-def: $vgpr26_vgpr27
                                        ; implicit-def: $vgpr34_vgpr35
	s_xor_b64 exec, exec, s[4:5]
	s_cbranch_execz .LBB0_13
; %bb.12:
	s_add_u32 s0, s16, s6
	s_mov_b32 s6, 0x97b425f
	s_addc_u32 s1, s17, s7
	v_mul_hi_u32 v1, v0, s6
	s_load_dwordx2 s[0:1], s[0:1], 0x0
	v_mul_u32_u24_e32 v1, 27, v1
	v_sub_u32_e32 v76, v0, v1
	s_waitcnt lgkmcnt(0)
	v_mul_lo_u32 v8, s1, v62
	v_mad_u64_u32 v[0:1], s[6:7], s22, v76, 0
	v_mul_lo_u32 v9, s0, v63
	v_mad_u64_u32 v[2:3], s[0:1], s0, v62, 0
	v_add_u32_e32 v78, 27, v76
	v_add_u32_e32 v79, 54, v76
	v_mad_u64_u32 v[6:7], s[0:1], s23, v76, v[1:2]
	v_add3_u32 v3, v3, v9, v8
	v_lshlrev_b64 v[2:3], 4, v[2:3]
	v_mov_b32_e32 v1, v6
	v_mov_b32_e32 v6, s13
	v_add_co_u32_e64 v7, s[0:1], s12, v2
	v_addc_co_u32_e64 v6, s[0:1], v6, v3, s[0:1]
	v_lshlrev_b64 v[2:3], 4, v[4:5]
	v_mad_u64_u32 v[4:5], s[0:1], s22, v78, 0
	v_add_co_u32_e64 v8, s[0:1], v7, v2
	v_mov_b32_e32 v2, v5
	v_addc_co_u32_e64 v9, s[0:1], v6, v3, s[0:1]
	v_mad_u64_u32 v[2:3], s[0:1], s23, v78, v[2:3]
	v_mad_u64_u32 v[6:7], s[0:1], s22, v79, 0
	v_lshlrev_b64 v[0:1], 4, v[0:1]
	v_mov_b32_e32 v5, v2
	v_add_co_u32_e64 v36, s[0:1], v8, v0
	v_mov_b32_e32 v2, v7
	v_addc_co_u32_e64 v37, s[0:1], v9, v1, s[0:1]
	v_mad_u64_u32 v[2:3], s[0:1], s23, v79, v[2:3]
	v_add_u32_e32 v77, 0x51, v76
	v_lshlrev_b64 v[0:1], 4, v[4:5]
	v_mad_u64_u32 v[3:4], s[0:1], s22, v77, 0
	v_add_co_u32_e64 v38, s[0:1], v8, v0
	v_mov_b32_e32 v7, v2
	v_mov_b32_e32 v2, v4
	v_addc_co_u32_e64 v39, s[0:1], v9, v1, s[0:1]
	v_lshlrev_b64 v[0:1], 4, v[6:7]
	v_mad_u64_u32 v[4:5], s[0:1], s23, v77, v[2:3]
	v_add_u32_e32 v7, 0x6c, v76
	v_mad_u64_u32 v[5:6], s[0:1], s22, v7, 0
	v_add_co_u32_e64 v45, s[0:1], v8, v0
	v_mov_b32_e32 v2, v6
	v_addc_co_u32_e64 v46, s[0:1], v9, v1, s[0:1]
	v_lshlrev_b64 v[0:1], 4, v[3:4]
	v_mad_u64_u32 v[2:3], s[0:1], s23, v7, v[2:3]
	v_add_u32_e32 v7, 0x87, v76
	v_mad_u64_u32 v[3:4], s[0:1], s22, v7, 0
	v_add_co_u32_e64 v47, s[0:1], v8, v0
	v_mov_b32_e32 v6, v2
	v_mov_b32_e32 v2, v4
	v_addc_co_u32_e64 v48, s[0:1], v9, v1, s[0:1]
	v_lshlrev_b64 v[0:1], 4, v[5:6]
	v_mad_u64_u32 v[4:5], s[0:1], s23, v7, v[2:3]
	v_add_u32_e32 v7, 0xa2, v76
	v_mad_u64_u32 v[5:6], s[0:1], s22, v7, 0
	v_add_co_u32_e64 v49, s[0:1], v8, v0
	v_mov_b32_e32 v2, v6
	v_addc_co_u32_e64 v50, s[0:1], v9, v1, s[0:1]
	v_lshlrev_b64 v[0:1], 4, v[3:4]
	v_mad_u64_u32 v[2:3], s[0:1], s23, v7, v[2:3]
	v_add_u32_e32 v7, 0xbd, v76
	;; [unrolled: 15-line block ×3, first 2 shown]
	v_mad_u64_u32 v[3:4], s[0:1], s22, v7, 0
	v_add_co_u32_e64 v55, s[0:1], v8, v0
	v_mov_b32_e32 v6, v2
	v_mov_b32_e32 v2, v4
	v_addc_co_u32_e64 v56, s[0:1], v9, v1, s[0:1]
	v_lshlrev_b64 v[0:1], 4, v[5:6]
	v_mad_u64_u32 v[4:5], s[0:1], s23, v7, v[2:3]
	v_add_co_u32_e64 v57, s[0:1], v8, v0
	v_addc_co_u32_e64 v58, s[0:1], v9, v1, s[0:1]
	v_lshlrev_b64 v[0:1], 4, v[3:4]
	v_add_co_u32_e64 v64, s[0:1], v8, v0
	v_addc_co_u32_e64 v65, s[0:1], v9, v1, s[0:1]
	global_load_dwordx4 v[32:35], v[36:37], off
	global_load_dwordx4 v[24:27], v[38:39], off
	;; [unrolled: 1-line block ×10, first 2 shown]
.LBB0_13:
	s_or_b64 exec, exec, s[4:5]
	s_waitcnt vmcnt(3)
	v_add_f64 v[36:37], v[12:13], v[20:21]
	s_waitcnt vmcnt(1)
	v_add_f64 v[47:48], v[4:5], v[40:41]
	v_add_f64 v[49:50], v[42:43], -v[6:7]
	s_mov_b32 s12, 0x134454ff
	s_mov_b32 s13, 0xbfee6f0e
	v_add_f64 v[38:39], v[40:41], -v[20:21]
	v_add_f64 v[45:46], v[4:5], -v[12:13]
	v_add_f64 v[55:56], v[22:23], -v[14:15]
	v_fma_f64 v[36:37], v[36:37], -0.5, v[32:33]
	v_fma_f64 v[47:48], v[47:48], -0.5, v[32:33]
	s_mov_b32 s16, 0x4755a5e
	s_mov_b32 s7, 0x3fee6f0e
	;; [unrolled: 1-line block ×4, first 2 shown]
	v_add_f64 v[51:52], v[20:21], -v[40:41]
	v_add_f64 v[53:54], v[12:13], -v[4:5]
	v_fma_f64 v[57:58], v[49:50], s[12:13], v[36:37]
	v_add_f64 v[64:65], v[8:9], v[16:17]
	v_fma_f64 v[36:37], v[49:50], s[6:7], v[36:37]
	v_fma_f64 v[66:67], v[55:56], s[6:7], v[47:48]
	v_add_f64 v[38:39], v[45:46], v[38:39]
	v_fma_f64 v[45:46], v[55:56], s[12:13], v[47:48]
	s_mov_b32 s18, 0x372fe950
	s_mov_b32 s11, 0x3fe2cf23
	v_fma_f64 v[47:48], v[55:56], s[16:17], v[57:58]
	s_mov_b32 s10, s16
	s_mov_b32 s19, 0x3fd3c6ef
	s_waitcnt vmcnt(0)
	v_add_f64 v[68:69], v[0:1], v[28:29]
	v_add_f64 v[51:52], v[53:54], v[51:52]
	v_fma_f64 v[36:37], v[55:56], s[10:11], v[36:37]
	v_fma_f64 v[53:54], v[49:50], s[16:17], v[66:67]
	;; [unrolled: 1-line block ×4, first 2 shown]
	v_fma_f64 v[47:48], v[64:65], -0.5, v[24:25]
	v_add_f64 v[55:56], v[30:31], -v[2:3]
	v_add_f64 v[57:58], v[18:19], -v[10:11]
	;; [unrolled: 1-line block ×3, first 2 shown]
	v_fma_f64 v[38:39], v[38:39], s[18:19], v[36:37]
	v_fma_f64 v[36:37], v[51:52], s[18:19], v[53:54]
	v_fma_f64 v[53:54], v[68:69], -0.5, v[24:25]
	v_fma_f64 v[84:85], v[51:52], s[18:19], v[45:46]
	v_add_f64 v[45:46], v[28:29], -v[16:17]
	v_add_f64 v[51:52], v[0:1], -v[8:9]
	v_fma_f64 v[64:65], v[55:56], s[12:13], v[47:48]
	v_fma_f64 v[47:48], v[55:56], s[6:7], v[47:48]
	v_add_f64 v[68:69], v[10:11], v[18:19]
	v_add_f64 v[70:71], v[8:9], -v[0:1]
	v_add_f64 v[74:75], v[2:3], v[30:31]
	v_fma_f64 v[72:73], v[57:58], s[6:7], v[53:54]
	v_fma_f64 v[53:54], v[57:58], s[12:13], v[53:54]
	v_add_f64 v[45:46], v[51:52], v[45:46]
	v_fma_f64 v[51:52], v[57:58], s[16:17], v[64:65]
	v_fma_f64 v[47:48], v[57:58], s[10:11], v[47:48]
	v_fma_f64 v[57:58], v[68:69], -0.5, v[26:27]
	v_add_f64 v[64:65], v[28:29], -v[0:1]
	v_add_f64 v[68:69], v[70:71], v[66:67]
	v_fma_f64 v[66:67], v[74:75], -0.5, v[26:27]
	v_add_f64 v[70:71], v[16:17], -v[8:9]
	v_fma_f64 v[74:75], v[55:56], s[16:17], v[72:73]
	v_fma_f64 v[53:54], v[55:56], s[10:11], v[53:54]
	v_add_f64 v[55:56], v[30:31], -v[18:19]
	v_add_f64 v[72:73], v[2:3], -v[10:11]
	v_fma_f64 v[80:81], v[64:65], s[6:7], v[57:58]
	v_add_f64 v[82:83], v[18:19], -v[30:31]
	v_add_f64 v[86:87], v[10:11], -v[2:3]
	v_add_f64 v[24:25], v[28:29], v[24:25]
	v_fma_f64 v[28:29], v[70:71], s[6:7], v[66:67]
	v_fma_f64 v[88:89], v[70:71], s[12:13], v[66:67]
	;; [unrolled: 1-line block ×3, first 2 shown]
	v_add_f64 v[32:33], v[40:41], v[32:33]
	v_add_f64 v[55:56], v[72:73], v[55:56]
	v_fma_f64 v[66:67], v[70:71], s[10:11], v[80:81]
	v_add_f64 v[80:81], v[86:87], v[82:83]
	v_add_f64 v[24:25], v[16:17], v[24:25]
	v_fma_f64 v[28:29], v[64:65], s[16:17], v[28:29]
	v_fma_f64 v[82:83], v[64:65], s[10:11], v[88:89]
	v_fma_f64 v[57:58], v[70:71], s[16:17], v[57:58]
	v_add_f64 v[32:33], v[20:21], v[32:33]
	v_fma_f64 v[74:75], v[68:69], s[18:19], v[74:75]
	v_fma_f64 v[64:65], v[55:56], s[18:19], v[66:67]
	v_fma_f64 v[72:73], v[45:46], s[18:19], v[51:52]
	;; [unrolled: 4-line block ×3, first 2 shown]
	v_fma_f64 v[68:69], v[55:56], s[18:19], v[57:58]
	v_add_f64 v[32:33], v[12:13], v[32:33]
	v_mul_f64 v[28:29], v[64:65], s[16:17]
	v_fma_f64 v[16:17], v[45:46], s[18:19], v[47:48]
	v_add_f64 v[0:1], v[0:1], v[24:25]
	v_mul_f64 v[24:25], v[70:71], s[12:13]
	v_mul_f64 v[45:46], v[66:67], s[12:13]
	s_mov_b32 s22, 0x9b97f4a8
	v_mul_f64 v[47:48], v[68:69], s[16:17]
	s_mov_b32 s23, 0x3fe9e377
	s_mov_b32 s1, 0xbfd3c6ef
	;; [unrolled: 1-line block ×3, first 2 shown]
	v_add_f64 v[32:33], v[4:5], v[32:33]
	v_fma_f64 v[28:29], v[72:73], s[22:23], v[28:29]
	v_fma_f64 v[24:25], v[8:9], s[0:1], v[24:25]
	s_mov_b32 s1, 0xbfe9e377
	s_mov_b32 s0, s22
	v_fma_f64 v[53:54], v[74:75], s[18:19], v[45:46]
	v_fma_f64 v[57:58], v[16:17], s[0:1], v[47:48]
	s_movk_i32 s0, 0xffb8
	v_add_f64 v[45:46], v[0:1], v[32:33]
	v_add_f64 v[47:48], v[49:50], v[28:29]
	;; [unrolled: 1-line block ×3, first 2 shown]
	v_add_f64 v[82:83], v[32:33], -v[0:1]
	v_add_f64 v[49:50], v[49:50], -v[28:29]
	;; [unrolled: 1-line block ×3, first 2 shown]
	v_add_f64 v[53:54], v[36:37], v[53:54]
	v_add_f64 v[80:81], v[38:39], v[57:58]
	v_add_f64 v[36:37], v[84:85], -v[24:25]
	v_add_f64 v[38:39], v[38:39], -v[57:58]
	v_and_b32_e32 v0, 3, v44
	v_mul_u32_u24_e32 v0, 0x10e, v0
	v_mul_u32_u24_e32 v1, 10, v76
	v_lshl_add_u32 v24, v0, 3, 0
	v_lshl_add_u32 v86, v1, 3, v24
	ds_write_b128 v86, v[45:48]
	ds_write_b128 v86, v[53:56] offset:16
	ds_write_b128 v86, v[80:83] offset:32
	ds_write_b128 v86, v[49:52] offset:48
	v_lshl_add_u32 v81, v76, 3, v24
	s_load_dwordx2 s[4:5], s[2:3], 0x0
	ds_write_b128 v86, v[36:39] offset:64
	s_waitcnt lgkmcnt(0)
	s_barrier
	v_lshl_add_u32 v82, v78, 3, v24
	v_lshl_add_u32 v83, v79, 3, v24
	v_mad_i32_i24 v80, v76, s0, v86
	ds_read_b64 v[32:33], v81
	ds_read_b64 v[28:29], v82
	;; [unrolled: 1-line block ×3, first 2 shown]
	ds_read2_b64 v[52:55], v80 offset0:90 offset1:117
	ds_read2_b64 v[48:51], v80 offset0:144 offset1:180
	;; [unrolled: 1-line block ×3, first 2 shown]
	v_cmp_gt_u32_e64 s[0:1], 9, v76
	v_lshlrev_b32_e32 v84, 3, v0
	v_lshlrev_b32_e32 v85, 3, v77
                                        ; implicit-def: $vgpr58_vgpr59
	s_and_saveexec_b64 s[2:3], s[0:1]
	s_cbranch_execz .LBB0_15
; %bb.14:
	v_add3_u32 v0, 0, v85, v84
	ds_read_b64 v[38:39], v0
	v_add_u32_e32 v0, 0x400, v80
	ds_read2_b64 v[56:59], v0 offset0:43 offset1:133
.LBB0_15:
	s_or_b64 exec, exec, s[2:3]
	v_add_f64 v[0:1], v[14:15], v[22:23]
	v_add_f64 v[36:37], v[6:7], v[42:43]
	;; [unrolled: 1-line block ×3, first 2 shown]
	v_add_f64 v[4:5], v[40:41], -v[4:5]
	v_add_f64 v[26:27], v[30:31], v[26:27]
	v_add_f64 v[12:13], v[20:21], -v[12:13]
	v_add_f64 v[20:21], v[42:43], -v[22:23]
	;; [unrolled: 1-line block ×3, first 2 shown]
	v_fma_f64 v[0:1], v[0:1], -0.5, v[34:35]
	v_fma_f64 v[34:35], v[36:37], -0.5, v[34:35]
	v_add_f64 v[42:43], v[22:23], -v[42:43]
	v_mul_f64 v[30:31], v[72:73], s[10:11]
	v_mul_f64 v[72:73], v[74:75], s[6:7]
	v_add_f64 v[22:23], v[22:23], v[87:88]
	v_add_f64 v[18:19], v[18:19], v[26:27]
	v_add_f64 v[36:37], v[14:15], -v[6:7]
	v_fma_f64 v[74:75], v[4:5], s[6:7], v[0:1]
	v_fma_f64 v[0:1], v[4:5], s[12:13], v[0:1]
	;; [unrolled: 1-line block ×4, first 2 shown]
	v_add_f64 v[20:21], v[40:41], v[20:21]
	v_add_f64 v[14:15], v[14:15], v[22:23]
	;; [unrolled: 1-line block ×4, first 2 shown]
	v_fma_f64 v[22:23], v[12:13], s[10:11], v[74:75]
	v_fma_f64 v[0:1], v[12:13], s[16:17], v[0:1]
	;; [unrolled: 1-line block ×4, first 2 shown]
	v_mul_f64 v[18:19], v[70:71], s[18:19]
	v_mul_f64 v[34:35], v[68:69], s[22:23]
	v_add_f64 v[14:15], v[6:7], v[14:15]
	v_add_f64 v[2:3], v[2:3], v[10:11]
	v_fma_f64 v[22:23], v[20:21], s[18:19], v[22:23]
	v_fma_f64 v[30:31], v[64:65], s[22:23], v[30:31]
	;; [unrolled: 1-line block ×6, first 2 shown]
	v_fma_f64 v[40:41], v[8:9], s[6:7], -v[18:19]
	v_fma_f64 v[34:35], v[16:17], s[10:11], -v[34:35]
	v_add_f64 v[4:5], v[2:3], v[14:15]
	v_add_f64 v[6:7], v[22:23], v[30:31]
	v_add_f64 v[14:15], v[14:15], -v[2:3]
	v_add_f64 v[16:17], v[22:23], -v[30:31]
	s_waitcnt lgkmcnt(0)
	v_add_f64 v[8:9], v[0:1], v[36:37]
	v_add_f64 v[10:11], v[26:27], v[40:41]
	;; [unrolled: 1-line block ×3, first 2 shown]
	v_add_f64 v[18:19], v[0:1], -v[36:37]
	v_add_f64 v[0:1], v[26:27], -v[40:41]
	;; [unrolled: 1-line block ×3, first 2 shown]
	s_barrier
	ds_write_b128 v86, v[4:7]
	ds_write_b128 v86, v[8:11] offset:16
	ds_write_b128 v86, v[12:15] offset:32
	;; [unrolled: 1-line block ×4, first 2 shown]
	s_waitcnt lgkmcnt(0)
	s_barrier
	ds_read2_b64 v[12:15], v80 offset0:90 offset1:117
	ds_read2_b64 v[4:7], v80 offset0:144 offset1:180
	ds_read2_b64 v[8:11], v80 offset0:207 offset1:234
	ds_read_b64 v[22:23], v81
	ds_read_b64 v[20:21], v82
	;; [unrolled: 1-line block ×3, first 2 shown]
                                        ; implicit-def: $vgpr18_vgpr19
	s_and_saveexec_b64 s[2:3], s[0:1]
	s_cbranch_execz .LBB0_17
; %bb.16:
	v_add3_u32 v2, 0, v85, v84
	v_add_u32_e32 v16, 0x400, v80
	ds_read_b64 v[2:3], v2
	ds_read2_b64 v[16:19], v16 offset0:43 offset1:133
.LBB0_17:
	s_or_b64 exec, exec, s[2:3]
	s_movk_i32 s2, 0xcd
	v_mul_lo_u16_sdwa v26, v76, s2 dst_sel:DWORD dst_unused:UNUSED_PAD src0_sel:BYTE_0 src1_sel:DWORD
	v_lshrrev_b16_e32 v26, 11, v26
	v_mul_lo_u16_e32 v27, 10, v26
	v_sub_u16_e32 v27, v76, v27
	v_mov_b32_e32 v30, 5
	v_lshlrev_b32_sdwa v31, v30, v27 dst_sel:DWORD dst_unused:UNUSED_PAD src0_sel:DWORD src1_sel:BYTE_0
	global_load_dwordx4 v[34:37], v31, s[8:9] offset:16
	global_load_dwordx4 v[64:67], v31, s[8:9]
	v_mul_lo_u16_sdwa v31, v78, s2 dst_sel:DWORD dst_unused:UNUSED_PAD src0_sel:BYTE_0 src1_sel:DWORD
	v_lshrrev_b16_e32 v31, 11, v31
	v_mul_lo_u16_e32 v40, 10, v31
	v_sub_u16_e32 v41, v78, v40
	v_lshlrev_b32_sdwa v40, v30, v41 dst_sel:DWORD dst_unused:UNUSED_PAD src0_sel:DWORD src1_sel:BYTE_0
	global_load_dwordx4 v[89:92], v40, s[8:9] offset:16
	global_load_dwordx4 v[68:71], v40, s[8:9]
	v_mul_lo_u16_sdwa v40, v79, s2 dst_sel:DWORD dst_unused:UNUSED_PAD src0_sel:BYTE_0 src1_sel:DWORD
	v_lshrrev_b16_e32 v42, 11, v40
	v_mul_lo_u16_e32 v40, 10, v42
	v_sub_u16_e32 v43, v79, v40
	;; [unrolled: 7-line block ×3, first 2 shown]
	v_lshlrev_b32_sdwa v30, v30, v86 dst_sel:DWORD dst_unused:UNUSED_PAD src0_sel:DWORD src1_sel:BYTE_0
	global_load_dwordx4 v[101:104], v30, s[8:9]
	global_load_dwordx4 v[105:108], v30, s[8:9] offset:16
	s_movk_i32 s10, 0xf0
	v_mov_b32_e32 v40, 3
	v_mad_u32_u24 v26, v26, s10, 0
	v_mad_u32_u24 v30, v31, s10, 0
	v_lshlrev_b32_sdwa v27, v40, v27 dst_sel:DWORD dst_unused:UNUSED_PAD src0_sel:DWORD src1_sel:BYTE_0
	v_lshlrev_b32_sdwa v31, v40, v41 dst_sel:DWORD dst_unused:UNUSED_PAD src0_sel:DWORD src1_sel:BYTE_0
	v_mad_u32_u24 v121, v42, s10, 0
	v_add3_u32 v88, v26, v27, v84
	v_add3_u32 v87, v30, v31, v84
	s_mov_b32 s2, 0xe8584caa
	s_mov_b32 s3, 0xbfebb67a
	s_mov_b32 s7, 0x3febb67a
	s_mov_b32 s6, s2
	v_lshlrev_b32_sdwa v43, v40, v43 dst_sel:DWORD dst_unused:UNUSED_PAD src0_sel:DWORD src1_sel:BYTE_0
	s_waitcnt vmcnt(0) lgkmcnt(0)
	s_barrier
	v_mul_f64 v[41:42], v[6:7], v[36:37]
	v_mul_f64 v[26:27], v[12:13], v[66:67]
	;; [unrolled: 1-line block ×8, first 2 shown]
	v_fma_f64 v[70:71], v[52:53], v[64:65], v[26:27]
	v_fma_f64 v[74:75], v[12:13], v[64:65], -v[30:31]
	v_mul_f64 v[115:116], v[10:11], v[95:96]
	v_mul_f64 v[113:114], v[4:5], v[99:100]
	;; [unrolled: 1-line block ×4, first 2 shown]
	v_fma_f64 v[72:73], v[50:51], v[34:35], v[41:42]
	v_fma_f64 v[50:51], v[6:7], v[34:35], -v[36:37]
	v_mul_f64 v[117:118], v[16:17], v[103:104]
	v_mul_f64 v[119:120], v[18:19], v[107:108]
	;; [unrolled: 1-line block ×4, first 2 shown]
	v_fma_f64 v[64:65], v[54:55], v[68:69], v[66:67]
	v_fma_f64 v[66:67], v[44:45], v[89:90], v[111:112]
	;; [unrolled: 1-line block ×6, first 2 shown]
	v_fma_f64 v[68:69], v[14:15], v[68:69], -v[109:110]
	v_fma_f64 v[26:27], v[8:9], v[89:90], -v[91:92]
	;; [unrolled: 1-line block ×5, first 2 shown]
	v_add_f64 v[4:5], v[32:33], v[70:71]
	v_add_f64 v[6:7], v[70:71], v[72:73]
	;; [unrolled: 1-line block ×5, first 2 shown]
	v_fma_f64 v[30:31], v[10:11], v[93:94], -v[95:96]
	v_add_f64 v[8:9], v[74:75], -v[50:51]
	v_add_f64 v[14:15], v[68:69], -v[26:27]
	v_add_f64 v[56:57], v[38:39], v[44:45]
	v_add_f64 v[89:90], v[54:55], -v[34:35]
	v_fma_f64 v[6:7], v[6:7], -0.5, v[32:33]
	v_add_f64 v[91:92], v[4:5], v[72:73]
	v_fma_f64 v[4:5], v[12:13], -0.5, v[28:29]
	v_fma_f64 v[12:13], v[18:19], -0.5, v[24:25]
	;; [unrolled: 1-line block ×3, first 2 shown]
	v_add_f64 v[10:11], v[28:29], v[64:65]
	v_add_f64 v[16:17], v[24:25], v[36:37]
	v_add_f64 v[41:42], v[48:49], -v[30:31]
	v_add_f64 v[32:33], v[56:57], v[52:53]
	v_fma_f64 v[28:29], v[8:9], s[2:3], v[6:7]
	v_fma_f64 v[8:9], v[8:9], s[6:7], v[6:7]
	;; [unrolled: 1-line block ×6, first 2 shown]
	v_add_f64 v[10:11], v[10:11], v[66:67]
	v_add_f64 v[16:17], v[16:17], v[46:47]
	v_fma_f64 v[56:57], v[41:42], s[2:3], v[12:13]
	v_fma_f64 v[12:13], v[41:42], s[6:7], v[12:13]
	v_add3_u32 v24, v121, v43, v84
	ds_write2_b64 v88, v[91:92], v[28:29] offset1:10
	ds_write_b64 v88, v[8:9] offset:160
	ds_write2_b64 v87, v[10:11], v[38:39] offset1:10
	ds_write_b64 v87, v[14:15] offset:160
	;; [unrolled: 2-line block ×3, first 2 shown]
	s_and_saveexec_b64 s[2:3], s[0:1]
	s_cbranch_execz .LBB0_19
; %bb.18:
	v_lshlrev_b32_sdwa v8, v40, v86 dst_sel:DWORD dst_unused:UNUSED_PAD src0_sel:DWORD src1_sel:BYTE_0
	v_add3_u32 v8, 0, v8, v84
	ds_write2_b64 v8, v[32:33], v[4:5] offset0:240 offset1:250
	ds_write_b64 v8, v[6:7] offset:2080
.LBB0_19:
	s_or_b64 exec, exec, s[2:3]
	s_waitcnt lgkmcnt(0)
	s_barrier
	ds_read2_b64 v[16:19], v80 offset0:90 offset1:117
	ds_read2_b64 v[8:11], v80 offset0:144 offset1:180
	;; [unrolled: 1-line block ×3, first 2 shown]
	ds_read_b64 v[42:43], v81
	ds_read_b64 v[40:41], v82
	;; [unrolled: 1-line block ×3, first 2 shown]
	s_and_saveexec_b64 s[2:3], s[0:1]
	s_cbranch_execz .LBB0_21
; %bb.20:
	v_add3_u32 v4, 0, v85, v84
	ds_read_b64 v[32:33], v4
	v_add_u32_e32 v4, 0x400, v80
	ds_read2_b64 v[4:7], v4 offset0:43 offset1:133
.LBB0_21:
	s_or_b64 exec, exec, s[2:3]
	v_add_f64 v[28:29], v[74:75], v[50:51]
	v_add_f64 v[56:57], v[22:23], v[74:75]
	v_add_f64 v[58:59], v[70:71], -v[72:73]
	v_add_f64 v[70:71], v[68:69], v[26:27]
	v_add_f64 v[64:65], v[64:65], -v[66:67]
	v_add_f64 v[66:67], v[48:49], v[30:31]
	v_add_f64 v[48:49], v[0:1], v[48:49]
	v_add_f64 v[36:37], v[36:37], -v[46:47]
	v_fma_f64 v[22:23], v[28:29], -0.5, v[22:23]
	v_add_f64 v[28:29], v[20:21], v[68:69]
	v_add_f64 v[68:69], v[54:55], v[34:35]
	v_add_f64 v[46:47], v[2:3], v[54:55]
	v_add_f64 v[44:45], v[44:45], -v[52:53]
	v_fma_f64 v[0:1], v[66:67], -0.5, v[0:1]
	v_fma_f64 v[20:21], v[70:71], -0.5, v[20:21]
	s_mov_b32 s2, 0xe8584caa
	s_mov_b32 s3, 0x3febb67a
	;; [unrolled: 1-line block ×3, first 2 shown]
	v_fma_f64 v[2:3], v[68:69], -0.5, v[2:3]
	s_mov_b32 s6, s2
	v_add_f64 v[50:51], v[56:57], v[50:51]
	v_fma_f64 v[56:57], v[58:59], s[2:3], v[22:23]
	v_add_f64 v[25:26], v[28:29], v[26:27]
	v_add_f64 v[29:30], v[48:49], v[30:31]
	v_fma_f64 v[48:49], v[36:37], s[2:3], v[0:1]
	v_fma_f64 v[36:37], v[36:37], s[6:7], v[0:1]
	v_add_f64 v[34:35], v[46:47], v[34:35]
	v_fma_f64 v[0:1], v[44:45], s[2:3], v[2:3]
	v_fma_f64 v[2:3], v[44:45], s[6:7], v[2:3]
	;; [unrolled: 1-line block ×5, first 2 shown]
	s_waitcnt lgkmcnt(0)
	s_barrier
	ds_write2_b64 v88, v[50:51], v[56:57] offset1:10
	ds_write_b64 v88, v[22:23] offset:160
	ds_write2_b64 v87, v[25:26], v[27:28] offset1:10
	ds_write_b64 v87, v[20:21] offset:160
	;; [unrolled: 2-line block ×3, first 2 shown]
	s_and_saveexec_b64 s[2:3], s[0:1]
	s_cbranch_execz .LBB0_23
; %bb.22:
	v_mov_b32_e32 v20, 3
	v_lshlrev_b32_sdwa v20, v20, v86 dst_sel:DWORD dst_unused:UNUSED_PAD src0_sel:DWORD src1_sel:BYTE_0
	v_add3_u32 v20, 0, v20, v84
	ds_write2_b64 v20, v[34:35], v[0:1] offset0:240 offset1:250
	ds_write_b64 v20, v[2:3] offset:2080
.LBB0_23:
	s_or_b64 exec, exec, s[2:3]
	s_waitcnt lgkmcnt(0)
	s_barrier
	ds_read2_b64 v[28:31], v80 offset0:90 offset1:117
	ds_read2_b64 v[20:23], v80 offset0:144 offset1:180
	ds_read2_b64 v[24:27], v80 offset0:207 offset1:234
	ds_read_b64 v[50:51], v81
	ds_read_b64 v[48:49], v82
	;; [unrolled: 1-line block ×3, first 2 shown]
	s_and_saveexec_b64 s[2:3], s[0:1]
	s_cbranch_execz .LBB0_25
; %bb.24:
	v_add3_u32 v0, 0, v85, v84
	ds_read_b64 v[34:35], v0
	v_add_u32_e32 v0, 0x400, v80
	ds_read2_b64 v[0:3], v0 offset0:43 offset1:133
.LBB0_25:
	s_or_b64 exec, exec, s[2:3]
	v_lshlrev_b32_e32 v44, 1, v76
	v_mov_b32_e32 v45, 0
	v_lshlrev_b64 v[36:37], 4, v[44:45]
	v_mov_b32_e32 v64, s9
	v_add_co_u32_e64 v36, s[2:3], s8, v36
	v_addc_co_u32_e64 v37, s[2:3], v64, v37, s[2:3]
	v_add_u32_e32 v44, -3, v76
	v_cmp_gt_u32_e64 s[2:3], 3, v76
	v_cndmask_b32_e64 v68, v44, v78, s[2:3]
	v_lshlrev_b32_e32 v44, 1, v68
	v_lshlrev_b64 v[44:45], 4, v[44:45]
	global_load_dwordx4 v[52:55], v[36:37], off offset:336
	global_load_dwordx4 v[56:59], v[36:37], off offset:320
	v_add_co_u32_e64 v44, s[2:3], s8, v44
	v_addc_co_u32_e64 v45, s[2:3], v64, v45, s[2:3]
	s_movk_i32 s2, 0x89
	global_load_dwordx4 v[86:89], v[44:45], off offset:336
	global_load_dwordx4 v[64:67], v[44:45], off offset:320
	v_mul_lo_u16_sdwa v44, v79, s2 dst_sel:DWORD dst_unused:UNUSED_PAD src0_sel:BYTE_0 src1_sel:DWORD
	v_lshrrev_b16_e32 v45, 12, v44
	v_mul_lo_u16_e32 v44, 30, v45
	v_sub_u16_e32 v69, v79, v44
	v_mov_b32_e32 v44, 5
	v_lshlrev_b32_sdwa v70, v44, v69 dst_sel:DWORD dst_unused:UNUSED_PAD src0_sel:DWORD src1_sel:BYTE_0
	global_load_dwordx4 v[90:93], v70, s[8:9] offset:336
	global_load_dwordx4 v[94:97], v70, s[8:9] offset:320
	v_mul_lo_u16_sdwa v70, v77, s2 dst_sel:DWORD dst_unused:UNUSED_PAD src0_sel:BYTE_0 src1_sel:DWORD
	v_lshrrev_b16_e32 v70, 12, v70
	v_mul_lo_u16_e32 v70, 30, v70
	v_sub_u16_e32 v72, v77, v70
	v_lshlrev_b32_sdwa v44, v44, v72 dst_sel:DWORD dst_unused:UNUSED_PAD src0_sel:DWORD src1_sel:BYTE_0
	global_load_dwordx4 v[98:101], v44, s[8:9] offset:320
	global_load_dwordx4 v[102:105], v44, s[8:9] offset:336
	v_mov_b32_e32 v70, 0x2d0
	v_cmp_lt_u32_e64 s[2:3], 2, v76
	v_cndmask_b32_e64 v70, 0, v70, s[2:3]
	v_mov_b32_e32 v44, 3
	v_add_u32_e32 v70, 0, v70
	v_lshlrev_b32_e32 v68, 3, v68
	v_add3_u32 v73, v70, v68, v84
	v_lshlrev_b32_sdwa v120, v44, v69 dst_sel:DWORD dst_unused:UNUSED_PAD src0_sel:DWORD src1_sel:BYTE_0
	s_mov_b32 s6, 0xe8584caa
	s_mov_b32 s7, 0xbfebb67a
	;; [unrolled: 1-line block ×4, first 2 shown]
	s_movk_i32 s12, 0x2d0
	v_mad_u32_u24 v45, v45, s12, 0
	s_waitcnt vmcnt(0) lgkmcnt(0)
	s_barrier
	v_mul_f64 v[74:75], v[22:23], v[54:55]
	v_mul_f64 v[68:69], v[28:29], v[58:59]
	;; [unrolled: 1-line block ×8, first 2 shown]
	v_fma_f64 v[66:67], v[16:17], v[56:57], v[68:69]
	v_fma_f64 v[70:71], v[28:29], v[56:57], -v[58:59]
	v_fma_f64 v[68:69], v[10:11], v[52:53], v[74:75]
	v_mul_f64 v[114:115], v[26:27], v[92:93]
	v_mul_f64 v[112:113], v[20:21], v[96:97]
	;; [unrolled: 1-line block ×4, first 2 shown]
	v_fma_f64 v[28:29], v[22:23], v[52:53], -v[54:55]
	v_fma_f64 v[56:57], v[18:19], v[64:65], v[106:107]
	v_mul_f64 v[116:117], v[0:1], v[100:101]
	v_mul_f64 v[118:119], v[2:3], v[104:105]
	;; [unrolled: 1-line block ×4, first 2 shown]
	v_fma_f64 v[64:65], v[30:31], v[64:65], -v[108:109]
	v_fma_f64 v[58:59], v[12:13], v[86:87], v[110:111]
	v_fma_f64 v[22:23], v[24:25], v[86:87], -v[88:89]
	v_fma_f64 v[24:25], v[8:9], v[94:95], v[112:113]
	;; [unrolled: 2-line block ×4, first 2 shown]
	v_fma_f64 v[6:7], v[6:7], v[102:103], v[118:119]
	v_fma_f64 v[54:55], v[0:1], v[98:99], -v[100:101]
	v_fma_f64 v[4:5], v[2:3], v[102:103], -v[104:105]
	v_add_f64 v[0:1], v[42:43], v[66:67]
	v_add_f64 v[2:3], v[66:67], v[68:69]
	;; [unrolled: 1-line block ×4, first 2 shown]
	v_add_f64 v[8:9], v[70:71], -v[28:29]
	v_add_f64 v[88:89], v[26:27], v[6:7]
	v_add_f64 v[14:15], v[64:65], -v[22:23]
	v_add_f64 v[86:87], v[32:33], v[26:27]
	v_add_f64 v[90:91], v[54:55], -v[4:5]
	v_fma_f64 v[2:3], v[2:3], -0.5, v[42:43]
	v_add_f64 v[42:43], v[0:1], v[68:69]
	v_fma_f64 v[0:1], v[12:13], -0.5, v[40:41]
	v_fma_f64 v[12:13], v[18:19], -0.5, v[38:39]
	v_fma_f64 v[18:19], v[88:89], -0.5, v[32:33]
	v_add_f64 v[10:11], v[40:41], v[56:57]
	v_add_f64 v[16:17], v[38:39], v[24:25]
	v_add_f64 v[74:75], v[52:53], -v[20:21]
	v_add_f64 v[32:33], v[86:87], v[6:7]
	v_fma_f64 v[39:40], v[8:9], s[6:7], v[2:3]
	v_fma_f64 v[8:9], v[8:9], s[10:11], v[2:3]
	;; [unrolled: 1-line block ×6, first 2 shown]
	v_add_f64 v[10:11], v[10:11], v[58:59]
	v_add_f64 v[16:17], v[16:17], v[30:31]
	v_fma_f64 v[88:89], v[74:75], s[6:7], v[12:13]
	v_fma_f64 v[12:13], v[74:75], s[10:11], v[12:13]
	v_add3_u32 v38, v45, v120, v84
	ds_write2_b64 v80, v[42:43], v[39:40] offset1:30
	ds_write_b64 v80, v[8:9] offset:480
	ds_write2_b64 v73, v[10:11], v[86:87] offset1:30
	ds_write_b64 v73, v[14:15] offset:480
	;; [unrolled: 2-line block ×3, first 2 shown]
	s_and_saveexec_b64 s[2:3], s[0:1]
	s_cbranch_execz .LBB0_27
; %bb.26:
	v_lshlrev_b32_sdwa v8, v44, v72 dst_sel:DWORD dst_unused:UNUSED_PAD src0_sel:DWORD src1_sel:BYTE_0
	v_add3_u32 v8, 0, v8, v84
	ds_write2_b64 v8, v[32:33], v[0:1] offset0:180 offset1:210
	ds_write_b64 v8, v[2:3] offset:1920
.LBB0_27:
	s_or_b64 exec, exec, s[2:3]
	s_waitcnt lgkmcnt(0)
	s_barrier
	ds_read2_b64 v[8:11], v80 offset0:90 offset1:117
	ds_read2_b64 v[16:19], v80 offset0:144 offset1:180
	;; [unrolled: 1-line block ×3, first 2 shown]
	ds_read_b64 v[44:45], v81
	ds_read_b64 v[40:41], v82
	;; [unrolled: 1-line block ×3, first 2 shown]
	s_and_saveexec_b64 s[2:3], s[0:1]
	s_cbranch_execz .LBB0_29
; %bb.28:
	v_add3_u32 v0, 0, v85, v84
	ds_read_b64 v[32:33], v0
	v_add_u32_e32 v0, 0x400, v80
	ds_read2_b64 v[0:3], v0 offset0:43 offset1:133
.LBB0_29:
	s_or_b64 exec, exec, s[2:3]
	v_add_f64 v[74:75], v[70:71], v[28:29]
	v_add_f64 v[70:71], v[50:51], v[70:71]
	v_add_f64 v[66:67], v[66:67], -v[68:69]
	v_add_f64 v[68:69], v[64:65], v[22:23]
	v_add_f64 v[56:57], v[56:57], -v[58:59]
	;; [unrolled: 2-line block ×3, first 2 shown]
	v_add_f64 v[30:31], v[34:35], v[54:55]
	v_fma_f64 v[50:51], v[74:75], -0.5, v[50:51]
	v_add_f64 v[74:75], v[54:55], v[4:5]
	v_add_f64 v[6:7], v[26:27], -v[6:7]
	v_add_f64 v[64:65], v[48:49], v[64:65]
	v_fma_f64 v[48:49], v[68:69], -0.5, v[48:49]
	v_add_f64 v[52:53], v[46:47], v[52:53]
	v_fma_f64 v[46:47], v[58:59], -0.5, v[46:47]
	s_mov_b32 s2, 0xe8584caa
	s_mov_b32 s3, 0x3febb67a
	v_fma_f64 v[54:55], v[74:75], -0.5, v[34:35]
	s_mov_b32 s7, 0xbfebb67a
	s_mov_b32 s6, s2
	v_add_f64 v[28:29], v[70:71], v[28:29]
	v_fma_f64 v[68:69], v[66:67], s[2:3], v[50:51]
	v_add_f64 v[34:35], v[30:31], v[4:5]
	v_fma_f64 v[50:51], v[66:67], s[6:7], v[50:51]
	;; [unrolled: 2-line block ×3, first 2 shown]
	v_fma_f64 v[6:7], v[6:7], s[6:7], v[54:55]
	v_fma_f64 v[26:27], v[56:57], s[2:3], v[48:49]
	;; [unrolled: 1-line block ×3, first 2 shown]
	v_add_f64 v[20:21], v[52:53], v[20:21]
	v_fma_f64 v[52:53], v[24:25], s[2:3], v[46:47]
	v_fma_f64 v[24:25], v[24:25], s[6:7], v[46:47]
	s_waitcnt lgkmcnt(0)
	s_barrier
	ds_write2_b64 v80, v[28:29], v[68:69] offset1:30
	ds_write_b64 v80, v[50:51] offset:480
	ds_write2_b64 v73, v[22:23], v[26:27] offset1:30
	ds_write_b64 v73, v[48:49] offset:480
	;; [unrolled: 2-line block ×3, first 2 shown]
	s_and_saveexec_b64 s[2:3], s[0:1]
	s_cbranch_execz .LBB0_31
; %bb.30:
	v_mov_b32_e32 v20, 3
	v_lshlrev_b32_sdwa v20, v20, v72 dst_sel:DWORD dst_unused:UNUSED_PAD src0_sel:DWORD src1_sel:BYTE_0
	v_add3_u32 v20, 0, v20, v84
	ds_write2_b64 v20, v[34:35], v[4:5] offset0:180 offset1:210
	ds_write_b64 v20, v[6:7] offset:1920
.LBB0_31:
	s_or_b64 exec, exec, s[2:3]
	s_waitcnt lgkmcnt(0)
	s_barrier
	ds_read2_b64 v[20:23], v80 offset0:90 offset1:117
	ds_read2_b64 v[28:31], v80 offset0:144 offset1:180
	;; [unrolled: 1-line block ×3, first 2 shown]
	ds_read_b64 v[50:51], v81
	ds_read_b64 v[46:47], v82
	ds_read_b64 v[48:49], v83
	s_and_saveexec_b64 s[2:3], s[0:1]
	s_cbranch_execz .LBB0_33
; %bb.32:
	v_add3_u32 v4, 0, v85, v84
	ds_read_b64 v[34:35], v4
	v_add_u32_e32 v4, 0x400, v80
	ds_read2_b64 v[4:7], v4 offset0:43 offset1:133
.LBB0_33:
	s_or_b64 exec, exec, s[2:3]
	s_and_saveexec_b64 s[2:3], vcc
	s_cbranch_execz .LBB0_36
; %bb.34:
	v_lshlrev_b32_e32 v38, 1, v79
	v_mov_b32_e32 v39, 0
	v_lshlrev_b64 v[52:53], 4, v[38:39]
	v_mov_b32_e32 v74, s9
	v_add_co_u32_e32 v72, vcc, s8, v52
	v_lshlrev_b32_e32 v38, 1, v78
	v_addc_co_u32_e32 v73, vcc, v74, v53, vcc
	global_load_dwordx4 v[52:55], v[36:37], off offset:1296
	global_load_dwordx4 v[56:59], v[36:37], off offset:1280
	;; [unrolled: 1-line block ×4, first 2 shown]
	v_lshlrev_b64 v[36:37], 4, v[38:39]
	v_mul_lo_u32 v38, s5, v62
	v_add_co_u32_e32 v36, vcc, s8, v36
	v_addc_co_u32_e32 v37, vcc, v74, v37, vcc
	global_load_dwordx4 v[72:75], v[36:37], off offset:1280
	global_load_dwordx4 v[78:81], v[36:37], off offset:1296
	v_mul_lo_u32 v63, s4, v63
	v_mad_u64_u32 v[36:37], s[2:3], s4, v62, 0
	v_mov_b32_e32 v82, s15
	v_lshrrev_b32_e32 v62, 1, v76
	v_add3_u32 v37, v37, v63, v38
	v_lshlrev_b64 v[36:37], 4, v[36:37]
	s_mov_b32 s7, 0xb60b60b7
	v_add_co_u32_e32 v95, vcc, s14, v36
	v_addc_co_u32_e32 v96, vcc, v82, v37, vcc
	v_mul_hi_u32 v62, v62, s7
	s_movk_i32 s6, 0x5a
	s_mov_b32 s2, 0xe8584caa
	v_lshlrev_b64 v[60:61], 4, v[60:61]
	v_lshrrev_b32_e32 v62, 5, v62
	v_mul_lo_u32 v62, v62, s6
	s_mov_b32 s3, 0xbfebb67a
	s_mov_b32 s5, 0x3febb67a
	s_mov_b32 s4, s2
	v_sub_u32_e32 v94, v76, v62
	v_mad_u64_u32 v[62:63], s[10:11], s20, v94, 0
	v_add_u32_e32 v97, 0x5a, v94
	s_movk_i32 s12, 0x10e
	v_mov_b32_e32 v36, v63
	v_mad_u64_u32 v[36:37], s[10:11], s21, v94, v[36:37]
	v_mad_u64_u32 v[37:38], s[10:11], s20, v97, 0
	v_mov_b32_e32 v63, v36
	v_mov_b32_e32 v36, v38
	s_waitcnt vmcnt(5)
	v_mul_f64 v[84:85], v[18:19], v[54:55]
	s_waitcnt vmcnt(4)
	v_mul_f64 v[82:83], v[8:9], v[58:59]
	s_waitcnt lgkmcnt(5)
	v_mul_f64 v[58:59], v[20:21], v[58:59]
	s_waitcnt lgkmcnt(4)
	v_mul_f64 v[54:55], v[30:31], v[54:55]
	s_waitcnt vmcnt(2)
	v_mul_f64 v[86:87], v[16:17], v[70:71]
	v_mul_f64 v[88:89], v[14:15], v[66:67]
	;; [unrolled: 1-line block ×3, first 2 shown]
	s_waitcnt lgkmcnt(3)
	v_mul_f64 v[66:67], v[26:27], v[66:67]
	v_fma_f64 v[30:31], v[30:31], v[52:53], -v[84:85]
	s_waitcnt vmcnt(1)
	v_mul_f64 v[90:91], v[10:11], v[74:75]
	s_waitcnt vmcnt(0)
	v_mul_f64 v[92:93], v[12:13], v[80:81]
	v_mul_f64 v[74:75], v[22:23], v[74:75]
	v_mul_f64 v[80:81], v[24:25], v[80:81]
	v_fma_f64 v[20:21], v[20:21], v[56:57], -v[82:83]
	v_fma_f64 v[8:9], v[8:9], v[56:57], v[58:59]
	v_fma_f64 v[18:19], v[18:19], v[52:53], v[54:55]
	v_fma_f64 v[28:29], v[28:29], v[68:69], -v[86:87]
	v_fma_f64 v[26:27], v[26:27], v[64:65], -v[88:89]
	;; [unrolled: 1-line block ×4, first 2 shown]
	v_fma_f64 v[10:11], v[10:11], v[72:73], v[74:75]
	v_fma_f64 v[52:53], v[12:13], v[78:79], v[80:81]
	;; [unrolled: 1-line block ×4, first 2 shown]
	v_add_f64 v[12:13], v[20:21], v[30:31]
	v_add_f64 v[54:55], v[8:9], -v[18:19]
	s_waitcnt lgkmcnt(2)
	v_add_f64 v[56:57], v[50:51], v[20:21]
	v_add_f64 v[58:59], v[20:21], -v[30:31]
	v_add_f64 v[20:21], v[8:9], v[18:19]
	v_add_f64 v[8:9], v[44:45], v[8:9]
	;; [unrolled: 1-line block ×4, first 2 shown]
	s_waitcnt lgkmcnt(1)
	v_add_f64 v[80:81], v[46:47], v[22:23]
	v_add_f64 v[82:83], v[22:23], -v[24:25]
	v_add_f64 v[22:23], v[10:11], v[52:53]
	v_add_f64 v[66:67], v[16:17], -v[14:15]
	s_waitcnt lgkmcnt(0)
	v_add_f64 v[68:69], v[48:49], v[28:29]
	v_add_f64 v[70:71], v[28:29], -v[26:27]
	v_add_f64 v[28:29], v[16:17], v[14:15]
	v_add_f64 v[78:79], v[10:11], -v[52:53]
	v_add_f64 v[84:85], v[40:41], v[10:11]
	v_fma_f64 v[50:51], v[12:13], -0.5, v[50:51]
	v_add_f64 v[12:13], v[56:57], v[30:31]
	v_fma_f64 v[30:31], v[20:21], -0.5, v[44:45]
	;; [unrolled: 2-line block ×3, first 2 shown]
	v_fma_f64 v[48:49], v[74:75], -0.5, v[46:47]
	v_fma_f64 v[56:57], v[22:23], -0.5, v[40:41]
	v_add_f64 v[72:73], v[42:43], v[16:17]
	v_add_f64 v[16:17], v[68:69], v[26:27]
	v_fma_f64 v[44:45], v[28:29], -0.5, v[42:43]
	v_fma_f64 v[22:23], v[58:59], s[4:5], v[30:31]
	v_fma_f64 v[26:27], v[58:59], s[2:3], v[30:31]
	;; [unrolled: 1-line block ×4, first 2 shown]
	v_add_co_u32_e32 v8, vcc, v95, v60
	v_lshlrev_b64 v[30:31], 4, v[62:63]
	v_add_f64 v[20:21], v[80:81], v[24:25]
	v_add_f64 v[18:19], v[84:85], v[52:53]
	v_fma_f64 v[24:25], v[54:55], s[2:3], v[50:51]
	v_fma_f64 v[28:29], v[54:55], s[4:5], v[50:51]
	;; [unrolled: 1-line block ×6, first 2 shown]
	v_addc_co_u32_e32 v9, vcc, v96, v61, vcc
	v_mad_u64_u32 v[56:57], s[10:11], s21, v97, v[36:37]
	v_add_co_u32_e32 v30, vcc, v8, v30
	v_addc_co_u32_e32 v31, vcc, v9, v31, vcc
	global_store_dwordx4 v[30:31], v[10:13], off
	v_add_u32_e32 v31, 27, v76
	v_mov_b32_e32 v38, v56
	v_lshrrev_b32_e32 v12, 1, v31
	v_lshlrev_b64 v[10:11], 4, v[37:38]
	v_mul_hi_u32 v36, v12, s7
	v_add_co_u32_e32 v10, vcc, v8, v10
	v_add_u32_e32 v30, 0xb4, v94
	v_addc_co_u32_e32 v11, vcc, v9, v11, vcc
	v_mad_u64_u32 v[12:13], s[10:11], s20, v30, 0
	global_store_dwordx4 v[10:11], v[26:29], off
	v_add_f64 v[14:15], v[72:73], v[14:15]
	v_lshrrev_b32_e32 v26, 5, v36
	v_mul_lo_u32 v27, v26, s6
	v_mov_b32_e32 v10, v13
	v_mad_u64_u32 v[10:11], s[10:11], s21, v30, v[10:11]
	v_sub_u32_e32 v11, v31, v27
	v_mad_u64_u32 v[26:27], s[10:11], v26, s12, v[11:12]
	v_mov_b32_e32 v13, v10
	v_lshlrev_b64 v[10:11], 4, v[12:13]
	v_mad_u64_u32 v[12:13], s[10:11], s20, v26, 0
	v_add_u32_e32 v30, 0x5a, v26
	v_add_co_u32_e32 v10, vcc, v8, v10
	v_mad_u64_u32 v[27:28], s[10:11], s21, v26, v[13:14]
	v_mad_u64_u32 v[28:29], s[10:11], s20, v30, 0
	v_addc_co_u32_e32 v11, vcc, v9, v11, vcc
	v_mov_b32_e32 v13, v27
	global_store_dwordx4 v[10:11], v[22:25], off
	v_lshlrev_b64 v[10:11], 4, v[12:13]
	v_mov_b32_e32 v12, v29
	v_mad_u64_u32 v[12:13], s[10:11], s21, v30, v[12:13]
	v_add_co_u32_e32 v10, vcc, v8, v10
	v_addc_co_u32_e32 v11, vcc, v9, v11, vcc
	global_store_dwordx4 v[10:11], v[18:21], off
	v_mov_b32_e32 v29, v12
	v_add_u32_e32 v18, 54, v76
	v_lshrrev_b32_e32 v12, 1, v18
	v_mul_hi_u32 v19, v12, s7
	v_add_u32_e32 v20, 0xb4, v26
	v_mad_u64_u32 v[12:13], s[10:11], s20, v20, 0
	v_lshrrev_b32_e32 v19, 5, v19
	v_mul_lo_u32 v21, v19, s6
	v_lshlrev_b64 v[10:11], 4, v[28:29]
	v_fma_f64 v[40:41], v[70:71], s[4:5], v[44:45]
	v_add_co_u32_e32 v10, vcc, v8, v10
	v_sub_u32_e32 v18, v18, v21
	v_mad_u64_u32 v[18:19], s[10:11], v19, s12, v[18:19]
	v_mad_u64_u32 v[19:20], s[10:11], s21, v20, v[13:14]
	;; [unrolled: 1-line block ×3, first 2 shown]
	v_addc_co_u32_e32 v11, vcc, v9, v11, vcc
	v_mov_b32_e32 v13, v19
	global_store_dwordx4 v[10:11], v[52:55], off
	v_lshlrev_b64 v[10:11], 4, v[12:13]
	v_mov_b32_e32 v12, v21
	v_mad_u64_u32 v[12:13], s[10:11], s21, v18, v[12:13]
	v_add_u32_e32 v19, 0x5a, v18
	v_add_co_u32_e32 v10, vcc, v8, v10
	v_mov_b32_e32 v21, v12
	v_mad_u64_u32 v[12:13], s[10:11], s20, v19, 0
	v_addc_co_u32_e32 v11, vcc, v9, v11, vcc
	global_store_dwordx4 v[10:11], v[48:51], off
	v_lshlrev_b64 v[10:11], 4, v[20:21]
	v_mad_u64_u32 v[19:20], s[10:11], s21, v19, v[13:14]
	v_add_u32_e32 v18, 0xb4, v18
	v_mad_u64_u32 v[20:21], s[10:11], s20, v18, 0
	v_fma_f64 v[44:45], v[70:71], s[2:3], v[44:45]
	v_add_co_u32_e32 v10, vcc, v8, v10
	v_addc_co_u32_e32 v11, vcc, v9, v11, vcc
	v_mov_b32_e32 v13, v19
	global_store_dwordx4 v[10:11], v[14:17], off
	v_lshlrev_b64 v[10:11], 4, v[12:13]
	v_mov_b32_e32 v12, v21
	v_mad_u64_u32 v[12:13], s[10:11], s21, v18, v[12:13]
	v_add_co_u32_e32 v10, vcc, v8, v10
	v_addc_co_u32_e32 v11, vcc, v9, v11, vcc
	v_mov_b32_e32 v21, v12
	global_store_dwordx4 v[10:11], v[44:47], off
	v_lshlrev_b64 v[10:11], 4, v[20:21]
	v_add_co_u32_e32 v10, vcc, v8, v10
	v_addc_co_u32_e32 v11, vcc, v9, v11, vcc
	global_store_dwordx4 v[10:11], v[40:43], off
	v_add_u32_e32 v10, 0x51, v76
	v_cmp_gt_u32_e32 vcc, s6, v10
	s_and_b64 exec, exec, vcc
	s_cbranch_execz .LBB0_36
; %bb.35:
	v_add_u32_e32 v11, -9, v76
	v_cndmask_b32_e64 v11, v11, v77, s[0:1]
	v_lshlrev_b32_e32 v38, 1, v11
	v_lshlrev_b64 v[11:12], 4, v[38:39]
	v_mov_b32_e32 v13, s9
	v_add_co_u32_e32 v19, vcc, s8, v11
	v_addc_co_u32_e32 v20, vcc, v13, v12, vcc
	global_load_dwordx4 v[11:14], v[19:20], off offset:1280
	global_load_dwordx4 v[15:18], v[19:20], off offset:1296
	v_add_u32_e32 v30, 0xab, v76
	v_mad_u64_u32 v[19:20], s[0:1], s20, v10, 0
	v_mad_u64_u32 v[21:22], s[0:1], s20, v30, 0
	v_add_u32_e32 v36, 0x105, v76
	v_mad_u64_u32 v[23:24], s[0:1], s20, v36, 0
	v_mad_u64_u32 v[25:26], s[0:1], s21, v10, v[20:21]
	v_mov_b32_e32 v10, v22
	v_mov_b32_e32 v20, v24
	s_waitcnt vmcnt(1)
	v_mul_f64 v[26:27], v[4:5], v[13:14]
	v_mul_f64 v[13:14], v[0:1], v[13:14]
	s_waitcnt vmcnt(0)
	v_mul_f64 v[28:29], v[6:7], v[17:18]
	v_mul_f64 v[17:18], v[2:3], v[17:18]
	v_mad_u64_u32 v[30:31], s[0:1], s21, v30, v[10:11]
	v_fma_f64 v[0:1], v[0:1], v[11:12], v[26:27]
	v_fma_f64 v[4:5], v[4:5], v[11:12], -v[13:14]
	v_fma_f64 v[2:3], v[2:3], v[15:16], v[28:29]
	v_fma_f64 v[6:7], v[6:7], v[15:16], -v[17:18]
	v_mad_u64_u32 v[10:11], s[0:1], s21, v36, v[20:21]
	v_mov_b32_e32 v20, v25
	v_mov_b32_e32 v22, v30
	;; [unrolled: 1-line block ×3, first 2 shown]
	v_lshlrev_b64 v[11:12], 4, v[19:20]
	v_add_f64 v[13:14], v[0:1], v[2:3]
	v_add_f64 v[15:16], v[4:5], v[6:7]
	v_lshlrev_b64 v[17:18], 4, v[21:22]
	v_lshlrev_b64 v[19:20], 4, v[23:24]
	v_add_f64 v[21:22], v[32:33], v[0:1]
	v_add_f64 v[23:24], v[4:5], -v[6:7]
	v_add_f64 v[4:5], v[34:35], v[4:5]
	v_add_f64 v[25:26], v[0:1], -v[2:3]
	v_fma_f64 v[13:14], v[13:14], -0.5, v[32:33]
	v_fma_f64 v[15:16], v[15:16], -0.5, v[34:35]
	v_add_co_u32_e32 v27, vcc, v8, v11
	v_add_f64 v[0:1], v[21:22], v[2:3]
	v_addc_co_u32_e32 v28, vcc, v9, v12, vcc
	v_add_f64 v[2:3], v[4:5], v[6:7]
	v_fma_f64 v[4:5], v[23:24], s[2:3], v[13:14]
	v_fma_f64 v[6:7], v[25:26], s[4:5], v[15:16]
	;; [unrolled: 1-line block ×4, first 2 shown]
	v_add_co_u32_e32 v14, vcc, v8, v17
	v_addc_co_u32_e32 v15, vcc, v9, v18, vcc
	v_add_co_u32_e32 v8, vcc, v8, v19
	v_addc_co_u32_e32 v9, vcc, v9, v20, vcc
	global_store_dwordx4 v[27:28], v[0:3], off
	global_store_dwordx4 v[14:15], v[4:7], off
	;; [unrolled: 1-line block ×3, first 2 shown]
.LBB0_36:
	s_endpgm
	.section	.rodata,"a",@progbits
	.p2align	6, 0x0
	.amdhsa_kernel fft_rtc_back_len270_factors_10_3_3_3_wgs_108_tpt_27_halfLds_dp_op_CI_CI_sbrr_dirReg
		.amdhsa_group_segment_fixed_size 0
		.amdhsa_private_segment_fixed_size 0
		.amdhsa_kernarg_size 104
		.amdhsa_user_sgpr_count 6
		.amdhsa_user_sgpr_private_segment_buffer 1
		.amdhsa_user_sgpr_dispatch_ptr 0
		.amdhsa_user_sgpr_queue_ptr 0
		.amdhsa_user_sgpr_kernarg_segment_ptr 1
		.amdhsa_user_sgpr_dispatch_id 0
		.amdhsa_user_sgpr_flat_scratch_init 0
		.amdhsa_user_sgpr_private_segment_size 0
		.amdhsa_uses_dynamic_stack 0
		.amdhsa_system_sgpr_private_segment_wavefront_offset 0
		.amdhsa_system_sgpr_workgroup_id_x 1
		.amdhsa_system_sgpr_workgroup_id_y 0
		.amdhsa_system_sgpr_workgroup_id_z 0
		.amdhsa_system_sgpr_workgroup_info 0
		.amdhsa_system_vgpr_workitem_id 0
		.amdhsa_next_free_vgpr 122
		.amdhsa_next_free_sgpr 32
		.amdhsa_reserve_vcc 1
		.amdhsa_reserve_flat_scratch 0
		.amdhsa_float_round_mode_32 0
		.amdhsa_float_round_mode_16_64 0
		.amdhsa_float_denorm_mode_32 3
		.amdhsa_float_denorm_mode_16_64 3
		.amdhsa_dx10_clamp 1
		.amdhsa_ieee_mode 1
		.amdhsa_fp16_overflow 0
		.amdhsa_exception_fp_ieee_invalid_op 0
		.amdhsa_exception_fp_denorm_src 0
		.amdhsa_exception_fp_ieee_div_zero 0
		.amdhsa_exception_fp_ieee_overflow 0
		.amdhsa_exception_fp_ieee_underflow 0
		.amdhsa_exception_fp_ieee_inexact 0
		.amdhsa_exception_int_div_zero 0
	.end_amdhsa_kernel
	.text
.Lfunc_end0:
	.size	fft_rtc_back_len270_factors_10_3_3_3_wgs_108_tpt_27_halfLds_dp_op_CI_CI_sbrr_dirReg, .Lfunc_end0-fft_rtc_back_len270_factors_10_3_3_3_wgs_108_tpt_27_halfLds_dp_op_CI_CI_sbrr_dirReg
                                        ; -- End function
	.section	.AMDGPU.csdata,"",@progbits
; Kernel info:
; codeLenInByte = 8280
; NumSgprs: 36
; NumVgprs: 122
; ScratchSize: 0
; MemoryBound: 1
; FloatMode: 240
; IeeeMode: 1
; LDSByteSize: 0 bytes/workgroup (compile time only)
; SGPRBlocks: 4
; VGPRBlocks: 30
; NumSGPRsForWavesPerEU: 36
; NumVGPRsForWavesPerEU: 122
; Occupancy: 2
; WaveLimiterHint : 1
; COMPUTE_PGM_RSRC2:SCRATCH_EN: 0
; COMPUTE_PGM_RSRC2:USER_SGPR: 6
; COMPUTE_PGM_RSRC2:TRAP_HANDLER: 0
; COMPUTE_PGM_RSRC2:TGID_X_EN: 1
; COMPUTE_PGM_RSRC2:TGID_Y_EN: 0
; COMPUTE_PGM_RSRC2:TGID_Z_EN: 0
; COMPUTE_PGM_RSRC2:TIDIG_COMP_CNT: 0
	.type	__hip_cuid_65a18feef224fe7f,@object ; @__hip_cuid_65a18feef224fe7f
	.section	.bss,"aw",@nobits
	.globl	__hip_cuid_65a18feef224fe7f
__hip_cuid_65a18feef224fe7f:
	.byte	0                               ; 0x0
	.size	__hip_cuid_65a18feef224fe7f, 1

	.ident	"AMD clang version 19.0.0git (https://github.com/RadeonOpenCompute/llvm-project roc-6.4.0 25133 c7fe45cf4b819c5991fe208aaa96edf142730f1d)"
	.section	".note.GNU-stack","",@progbits
	.addrsig
	.addrsig_sym __hip_cuid_65a18feef224fe7f
	.amdgpu_metadata
---
amdhsa.kernels:
  - .args:
      - .actual_access:  read_only
        .address_space:  global
        .offset:         0
        .size:           8
        .value_kind:     global_buffer
      - .offset:         8
        .size:           8
        .value_kind:     by_value
      - .actual_access:  read_only
        .address_space:  global
        .offset:         16
        .size:           8
        .value_kind:     global_buffer
      - .actual_access:  read_only
        .address_space:  global
        .offset:         24
        .size:           8
        .value_kind:     global_buffer
      - .actual_access:  read_only
        .address_space:  global
        .offset:         32
        .size:           8
        .value_kind:     global_buffer
      - .offset:         40
        .size:           8
        .value_kind:     by_value
      - .actual_access:  read_only
        .address_space:  global
        .offset:         48
        .size:           8
        .value_kind:     global_buffer
      - .actual_access:  read_only
        .address_space:  global
        .offset:         56
        .size:           8
        .value_kind:     global_buffer
      - .offset:         64
        .size:           4
        .value_kind:     by_value
      - .actual_access:  read_only
        .address_space:  global
        .offset:         72
        .size:           8
        .value_kind:     global_buffer
      - .actual_access:  read_only
        .address_space:  global
        .offset:         80
        .size:           8
        .value_kind:     global_buffer
      - .actual_access:  read_only
        .address_space:  global
        .offset:         88
        .size:           8
        .value_kind:     global_buffer
      - .actual_access:  write_only
        .address_space:  global
        .offset:         96
        .size:           8
        .value_kind:     global_buffer
    .group_segment_fixed_size: 0
    .kernarg_segment_align: 8
    .kernarg_segment_size: 104
    .language:       OpenCL C
    .language_version:
      - 2
      - 0
    .max_flat_workgroup_size: 108
    .name:           fft_rtc_back_len270_factors_10_3_3_3_wgs_108_tpt_27_halfLds_dp_op_CI_CI_sbrr_dirReg
    .private_segment_fixed_size: 0
    .sgpr_count:     36
    .sgpr_spill_count: 0
    .symbol:         fft_rtc_back_len270_factors_10_3_3_3_wgs_108_tpt_27_halfLds_dp_op_CI_CI_sbrr_dirReg.kd
    .uniform_work_group_size: 1
    .uses_dynamic_stack: false
    .vgpr_count:     122
    .vgpr_spill_count: 0
    .wavefront_size: 64
amdhsa.target:   amdgcn-amd-amdhsa--gfx906
amdhsa.version:
  - 1
  - 2
...

	.end_amdgpu_metadata
